;; amdgpu-corpus repo=zjin-lcf/HeCBench kind=compiled arch=gfx950 opt=O3
	.amdgcn_target "amdgcn-amd-amdhsa--gfx950"
	.amdhsa_code_object_version 6
	.section	.text._Z18benchmark_constantIiEvPii,"axG",@progbits,_Z18benchmark_constantIiEvPii,comdat
	.protected	_Z18benchmark_constantIiEvPii ; -- Begin function _Z18benchmark_constantIiEvPii
	.globl	_Z18benchmark_constantIiEvPii
	.p2align	8
	.type	_Z18benchmark_constantIiEvPii,@function
_Z18benchmark_constantIiEvPii:          ; @_Z18benchmark_constantIiEvPii
; %bb.0:
	s_mov_b32 s7, 0
	s_mov_b32 s4, 4
	s_movk_i32 s3, 0x100
	s_mov_b32 s6, s7
	s_mov_b32 s16, s7
	s_mov_b32 s18, s7
.LBB0_1:                                ; =>This Inner Loop Header: Depth=1
	s_lshl_b64 s[10:11], s[6:7], 2
	s_getpc_b64 s[8:9]
	s_add_u32 s8, s8, constant_data@rel32@lo+4
	s_addc_u32 s9, s9, constant_data@rel32@hi+12
	s_mov_b32 s5, s7
	s_add_u32 s10, s8, s10
	s_addc_u32 s11, s9, s11
	s_lshl_b64 s[42:43], s[4:5], 2
	s_add_u32 s42, s8, s42
	s_addc_u32 s43, s9, s43
	s_load_dword s5, s[10:11], 0x0
	s_load_dword s20, s[42:43], 0x0
	s_mov_b32 s13, s7
	s_add_i32 s12, s6, 8
	s_add_i32 s14, s4, 8
	s_lshl_b64 s[10:11], s[12:13], 2
	s_waitcnt lgkmcnt(0)
	s_add_i32 s5, s5, s16
	s_add_i32 s20, s20, s18
	s_mov_b32 s15, s7
	s_add_u32 s10, s8, s10
	s_addc_u32 s11, s9, s11
	s_lshl_b64 s[12:13], s[14:15], 2
	s_add_u32 s12, s8, s12
	s_addc_u32 s13, s9, s13
	s_load_dword s14, s[10:11], 0x0
	s_mov_b32 s17, s7
	s_load_dword s12, s[12:13], 0x0
	s_add_i32 s16, s6, 16
	s_add_i32 s18, s4, 16
	s_lshl_b64 s[10:11], s[16:17], 2
	s_waitcnt lgkmcnt(0)
	s_add_i32 s14, s14, s5
	s_add_i32 s5, s12, s20
	s_mov_b32 s19, s7
	s_add_u32 s10, s8, s10
	s_addc_u32 s11, s9, s11
	s_lshl_b64 s[12:13], s[18:19], 2
	s_add_u32 s12, s8, s12
	s_addc_u32 s13, s9, s13
	s_load_dword s15, s[10:11], 0x0
	s_mov_b32 s21, s7
	s_load_dword s12, s[12:13], 0x0
	;; [unrolled: 15-line block ×6, first 2 shown]
	s_add_i32 s38, s6, 56
	s_add_i32 s40, s4, 56
	s_lshl_b64 s[10:11], s[38:39], 2
	s_waitcnt lgkmcnt(0)
	s_add_i32 s15, s15, s14
	s_add_i32 s5, s12, s5
	s_mov_b32 s41, s7
	s_add_u32 s10, s8, s10
	s_addc_u32 s11, s9, s11
	s_lshl_b64 s[12:13], s[40:41], 2
	s_add_u32 s8, s8, s12
	s_addc_u32 s9, s9, s13
	s_load_dword s10, s[10:11], 0x0
	s_add_i32 s6, s6, 64
	s_load_dword s8, s[8:9], 0x0
	s_add_i32 s4, s4, 64
	s_add_i32 s3, s3, -16
	s_waitcnt lgkmcnt(0)
	s_add_i32 s16, s10, s15
	s_add_i32 s18, s8, s5
	s_cmp_lg_u32 s3, 0
	s_cbranch_scc1 .LBB0_1
; %bb.2:
	s_mov_b32 s7, 0
	s_add_i32 s16, s16, s18
	s_mov_b32 s4, 4
	s_movk_i32 s3, 0x100
	s_mov_b32 s6, s7
	s_mov_b32 s18, s7
.LBB0_3:                                ; =>This Inner Loop Header: Depth=1
	s_lshl_b64 s[10:11], s[6:7], 2
	s_mov_b32 s5, s7
	s_getpc_b64 s[8:9]
	s_add_u32 s8, s8, constant_data@rel32@lo+8
	s_addc_u32 s9, s9, constant_data@rel32@hi+16
	s_lshl_b64 s[42:43], s[4:5], 2
	s_add_u32 s10, s8, s10
	s_addc_u32 s11, s9, s11
	s_add_u32 s42, s8, s42
	s_addc_u32 s43, s9, s43
	s_load_dword s5, s[10:11], 0x0
	s_load_dword s20, s[42:43], 0x0
	s_mov_b32 s13, s7
	s_mov_b32 s15, s7
	s_add_i32 s14, s4, 8
	s_add_i32 s12, s6, 8
	s_lshl_b64 s[10:11], s[12:13], 2
	s_lshl_b64 s[12:13], s[14:15], 2
	s_waitcnt lgkmcnt(0)
	s_add_i32 s5, s5, s16
	s_add_i32 s20, s20, s18
	s_add_u32 s10, s8, s10
	s_addc_u32 s11, s9, s11
	s_add_u32 s12, s8, s12
	s_addc_u32 s13, s9, s13
	s_load_dword s14, s[10:11], 0x0
	s_load_dword s15, s[12:13], 0x0
	s_mov_b32 s17, s7
	s_mov_b32 s19, s7
	s_add_i32 s18, s4, 16
	s_add_i32 s16, s6, 16
	s_lshl_b64 s[10:11], s[16:17], 2
	s_lshl_b64 s[12:13], s[18:19], 2
	s_waitcnt lgkmcnt(0)
	s_add_i32 s14, s14, s5
	s_add_i32 s15, s15, s20
	;; [unrolled: 15-line block ×7, first 2 shown]
	s_add_u32 s10, s8, s10
	s_addc_u32 s11, s9, s11
	s_add_u32 s8, s8, s12
	s_addc_u32 s9, s9, s13
	s_load_dword s10, s[10:11], 0x0
	s_add_i32 s6, s6, 64
	s_load_dword s8, s[8:9], 0x0
	s_add_i32 s4, s4, 64
	s_add_i32 s3, s3, -16
	s_waitcnt lgkmcnt(0)
	s_add_i32 s16, s10, s5
	s_add_i32 s18, s8, s14
	s_cmp_lg_u32 s3, 0
	s_cbranch_scc1 .LBB0_3
; %bb.4:
	s_mov_b32 s7, 0
	s_add_i32 s16, s16, s18
	s_mov_b32 s4, 4
	s_movk_i32 s3, 0x100
	s_mov_b32 s6, s7
	s_mov_b32 s18, s7
.LBB0_5:                                ; =>This Inner Loop Header: Depth=1
	s_lshl_b64 s[10:11], s[6:7], 2
	s_mov_b32 s5, s7
	s_getpc_b64 s[8:9]
	s_add_u32 s8, s8, constant_data@rel32@lo+12
	s_addc_u32 s9, s9, constant_data@rel32@hi+20
	s_lshl_b64 s[42:43], s[4:5], 2
	s_add_u32 s10, s8, s10
	s_addc_u32 s11, s9, s11
	s_add_u32 s42, s8, s42
	s_addc_u32 s43, s9, s43
	s_load_dword s5, s[10:11], 0x0
	s_load_dword s20, s[42:43], 0x0
	s_mov_b32 s13, s7
	s_mov_b32 s15, s7
	s_add_i32 s14, s4, 8
	s_add_i32 s12, s6, 8
	s_lshl_b64 s[10:11], s[12:13], 2
	s_lshl_b64 s[12:13], s[14:15], 2
	s_waitcnt lgkmcnt(0)
	s_add_i32 s5, s5, s16
	s_add_i32 s20, s20, s18
	s_add_u32 s10, s8, s10
	s_addc_u32 s11, s9, s11
	s_add_u32 s12, s8, s12
	s_addc_u32 s13, s9, s13
	s_load_dword s14, s[10:11], 0x0
	s_load_dword s15, s[12:13], 0x0
	s_mov_b32 s17, s7
	s_mov_b32 s19, s7
	s_add_i32 s18, s4, 16
	s_add_i32 s16, s6, 16
	s_lshl_b64 s[10:11], s[16:17], 2
	s_lshl_b64 s[12:13], s[18:19], 2
	s_waitcnt lgkmcnt(0)
	s_add_i32 s14, s14, s5
	s_add_i32 s15, s15, s20
	;; [unrolled: 15-line block ×7, first 2 shown]
	s_add_u32 s10, s8, s10
	s_addc_u32 s11, s9, s11
	s_add_u32 s8, s8, s12
	s_addc_u32 s9, s9, s13
	s_load_dword s10, s[10:11], 0x0
	s_add_i32 s6, s6, 64
	s_load_dword s8, s[8:9], 0x0
	s_add_i32 s4, s4, 64
	s_add_i32 s3, s3, -16
	s_waitcnt lgkmcnt(0)
	s_add_i32 s16, s10, s5
	s_add_i32 s18, s8, s14
	s_cmp_lg_u32 s3, 0
	s_cbranch_scc1 .LBB0_5
; %bb.6:
	s_mov_b32 s7, 0
	s_add_i32 s16, s16, s18
	s_mov_b32 s4, 4
	s_movk_i32 s3, 0x100
	s_mov_b32 s6, s7
	s_mov_b32 s18, s7
.LBB0_7:                                ; =>This Inner Loop Header: Depth=1
	s_lshl_b64 s[10:11], s[6:7], 2
	s_mov_b32 s5, s7
	s_getpc_b64 s[8:9]
	s_add_u32 s8, s8, constant_data@rel32@lo+16
	s_addc_u32 s9, s9, constant_data@rel32@hi+24
	s_lshl_b64 s[42:43], s[4:5], 2
	s_add_u32 s10, s8, s10
	s_addc_u32 s11, s9, s11
	s_add_u32 s42, s8, s42
	s_addc_u32 s43, s9, s43
	s_load_dword s5, s[10:11], 0x0
	s_load_dword s20, s[42:43], 0x0
	s_mov_b32 s13, s7
	s_mov_b32 s15, s7
	s_add_i32 s14, s4, 8
	s_add_i32 s12, s6, 8
	s_lshl_b64 s[10:11], s[12:13], 2
	s_lshl_b64 s[12:13], s[14:15], 2
	s_waitcnt lgkmcnt(0)
	s_add_i32 s5, s5, s16
	s_add_i32 s20, s20, s18
	s_add_u32 s10, s8, s10
	s_addc_u32 s11, s9, s11
	s_add_u32 s12, s8, s12
	s_addc_u32 s13, s9, s13
	s_load_dword s14, s[10:11], 0x0
	s_load_dword s15, s[12:13], 0x0
	s_mov_b32 s17, s7
	s_mov_b32 s19, s7
	s_add_i32 s18, s4, 16
	s_add_i32 s16, s6, 16
	s_lshl_b64 s[10:11], s[16:17], 2
	s_lshl_b64 s[12:13], s[18:19], 2
	s_waitcnt lgkmcnt(0)
	s_add_i32 s14, s14, s5
	s_add_i32 s15, s15, s20
	;; [unrolled: 15-line block ×7, first 2 shown]
	s_add_u32 s10, s8, s10
	s_addc_u32 s11, s9, s11
	s_add_u32 s8, s8, s12
	s_addc_u32 s9, s9, s13
	s_load_dword s10, s[10:11], 0x0
	s_add_i32 s6, s6, 64
	s_load_dword s8, s[8:9], 0x0
	s_add_i32 s4, s4, 64
	s_add_i32 s3, s3, -16
	s_waitcnt lgkmcnt(0)
	s_add_i32 s16, s10, s5
	s_add_i32 s18, s8, s14
	s_cmp_lg_u32 s3, 0
	s_cbranch_scc1 .LBB0_7
; %bb.8:
	v_or_b32_e32 v0, s2, v0
	v_cmp_eq_u32_e32 vcc, 0, v0
	s_and_saveexec_b64 s[2:3], vcc
	s_cbranch_execz .LBB0_10
; %bb.9:
	s_load_dwordx2 s[0:1], s[0:1], 0x0
	s_add_i32 s2, s16, s18
	v_mov_b32_e32 v0, 0
	v_mov_b32_e32 v1, s2
	s_waitcnt lgkmcnt(0)
	global_store_dword v0, v1, s[0:1]
.LBB0_10:
	s_endpgm
	.section	.rodata,"a",@progbits
	.p2align	6, 0x0
	.amdhsa_kernel _Z18benchmark_constantIiEvPii
		.amdhsa_group_segment_fixed_size 0
		.amdhsa_private_segment_fixed_size 0
		.amdhsa_kernarg_size 12
		.amdhsa_user_sgpr_count 2
		.amdhsa_user_sgpr_dispatch_ptr 0
		.amdhsa_user_sgpr_queue_ptr 0
		.amdhsa_user_sgpr_kernarg_segment_ptr 1
		.amdhsa_user_sgpr_dispatch_id 0
		.amdhsa_user_sgpr_kernarg_preload_length 0
		.amdhsa_user_sgpr_kernarg_preload_offset 0
		.amdhsa_user_sgpr_private_segment_size 0
		.amdhsa_uses_dynamic_stack 0
		.amdhsa_enable_private_segment 0
		.amdhsa_system_sgpr_workgroup_id_x 1
		.amdhsa_system_sgpr_workgroup_id_y 0
		.amdhsa_system_sgpr_workgroup_id_z 0
		.amdhsa_system_sgpr_workgroup_info 0
		.amdhsa_system_vgpr_workitem_id 0
		.amdhsa_next_free_vgpr 2
		.amdhsa_next_free_sgpr 44
		.amdhsa_accum_offset 4
		.amdhsa_reserve_vcc 1
		.amdhsa_float_round_mode_32 0
		.amdhsa_float_round_mode_16_64 0
		.amdhsa_float_denorm_mode_32 3
		.amdhsa_float_denorm_mode_16_64 3
		.amdhsa_dx10_clamp 1
		.amdhsa_ieee_mode 1
		.amdhsa_fp16_overflow 0
		.amdhsa_tg_split 0
		.amdhsa_exception_fp_ieee_invalid_op 0
		.amdhsa_exception_fp_denorm_src 0
		.amdhsa_exception_fp_ieee_div_zero 0
		.amdhsa_exception_fp_ieee_overflow 0
		.amdhsa_exception_fp_ieee_underflow 0
		.amdhsa_exception_fp_ieee_inexact 0
		.amdhsa_exception_int_div_zero 0
	.end_amdhsa_kernel
	.section	.text._Z18benchmark_constantIiEvPii,"axG",@progbits,_Z18benchmark_constantIiEvPii,comdat
.Lfunc_end0:
	.size	_Z18benchmark_constantIiEvPii, .Lfunc_end0-_Z18benchmark_constantIiEvPii
                                        ; -- End function
	.set _Z18benchmark_constantIiEvPii.num_vgpr, 2
	.set _Z18benchmark_constantIiEvPii.num_agpr, 0
	.set _Z18benchmark_constantIiEvPii.numbered_sgpr, 44
	.set _Z18benchmark_constantIiEvPii.num_named_barrier, 0
	.set _Z18benchmark_constantIiEvPii.private_seg_size, 0
	.set _Z18benchmark_constantIiEvPii.uses_vcc, 1
	.set _Z18benchmark_constantIiEvPii.uses_flat_scratch, 0
	.set _Z18benchmark_constantIiEvPii.has_dyn_sized_stack, 0
	.set _Z18benchmark_constantIiEvPii.has_recursion, 0
	.set _Z18benchmark_constantIiEvPii.has_indirect_call, 0
	.section	.AMDGPU.csdata,"",@progbits
; Kernel info:
; codeLenInByte = 2436
; TotalNumSgprs: 50
; NumVgprs: 2
; NumAgprs: 0
; TotalNumVgprs: 2
; ScratchSize: 0
; MemoryBound: 0
; FloatMode: 240
; IeeeMode: 1
; LDSByteSize: 0 bytes/workgroup (compile time only)
; SGPRBlocks: 6
; VGPRBlocks: 0
; NumSGPRsForWavesPerEU: 50
; NumVGPRsForWavesPerEU: 2
; AccumOffset: 4
; Occupancy: 8
; WaveLimiterHint : 0
; COMPUTE_PGM_RSRC2:SCRATCH_EN: 0
; COMPUTE_PGM_RSRC2:USER_SGPR: 2
; COMPUTE_PGM_RSRC2:TRAP_HANDLER: 0
; COMPUTE_PGM_RSRC2:TGID_X_EN: 1
; COMPUTE_PGM_RSRC2:TGID_Y_EN: 0
; COMPUTE_PGM_RSRC2:TGID_Z_EN: 0
; COMPUTE_PGM_RSRC2:TIDIG_COMP_CNT: 0
; COMPUTE_PGM_RSRC3_GFX90A:ACCUM_OFFSET: 0
; COMPUTE_PGM_RSRC3_GFX90A:TG_SPLIT: 0
	.section	.text._Z18benchmark_constantI15HIP_vector_typeIiLj2EEEvPii,"axG",@progbits,_Z18benchmark_constantI15HIP_vector_typeIiLj2EEEvPii,comdat
	.protected	_Z18benchmark_constantI15HIP_vector_typeIiLj2EEEvPii ; -- Begin function _Z18benchmark_constantI15HIP_vector_typeIiLj2EEEvPii
	.globl	_Z18benchmark_constantI15HIP_vector_typeIiLj2EEEvPii
	.p2align	8
	.type	_Z18benchmark_constantI15HIP_vector_typeIiLj2EEEvPii,@function
_Z18benchmark_constantI15HIP_vector_typeIiLj2EEEvPii: ; @_Z18benchmark_constantI15HIP_vector_typeIiLj2EEEvPii
; %bb.0:
	s_mov_b32 s7, 0
	s_mov_b32 s4, 4
	s_movk_i32 s3, 0x80
	s_mov_b32 s6, s7
	s_mov_b32 s16, s7
	;; [unrolled: 1-line block ×5, first 2 shown]
.LBB1_1:                                ; =>This Inner Loop Header: Depth=1
	s_lshl_b64 s[10:11], s[6:7], 3
	s_getpc_b64 s[8:9]
	s_add_u32 s8, s8, constant_data@rel32@lo+4
	s_addc_u32 s9, s9, constant_data@rel32@hi+12
	s_mov_b32 s5, s7
	s_add_u32 s10, s8, s10
	s_addc_u32 s11, s9, s11
	s_lshl_b64 s[42:43], s[4:5], 3
	s_add_u32 s42, s8, s42
	s_addc_u32 s43, s9, s43
	s_load_dwordx2 s[10:11], s[10:11], 0x0
	s_mov_b32 s13, s7
	s_load_dwordx2 s[42:43], s[42:43], 0x0
	s_add_i32 s12, s6, 8
	s_add_i32 s14, s4, 8
	s_lshl_b64 s[12:13], s[12:13], 3
	s_waitcnt lgkmcnt(0)
	s_add_i32 s5, s10, s16
	s_add_i32 s20, s11, s20
	s_add_i32 s24, s42, s18
	s_add_i32 s22, s43, s22
	s_mov_b32 s15, s7
	s_add_u32 s10, s8, s12
	s_addc_u32 s11, s9, s13
	s_lshl_b64 s[12:13], s[14:15], 3
	s_add_u32 s12, s8, s12
	s_addc_u32 s13, s9, s13
	s_load_dwordx2 s[10:11], s[10:11], 0x0
	s_mov_b32 s17, s7
	s_load_dwordx2 s[12:13], s[12:13], 0x0
	s_add_i32 s16, s6, 16
	s_add_i32 s18, s4, 16
	s_lshl_b64 s[14:15], s[16:17], 3
	s_waitcnt lgkmcnt(0)
	s_add_i32 s5, s10, s5
	s_add_i32 s16, s11, s20
	s_add_i32 s17, s12, s24
	s_add_i32 s24, s13, s22
	;; [unrolled: 17-line block ×7, first 2 shown]
	s_mov_b32 s41, s7
	s_add_u32 s10, s8, s14
	s_addc_u32 s11, s9, s15
	s_lshl_b64 s[12:13], s[40:41], 3
	s_add_u32 s8, s8, s12
	s_addc_u32 s9, s9, s13
	s_load_dwordx2 s[10:11], s[10:11], 0x0
	s_add_i32 s6, s6, 64
	s_load_dwordx2 s[8:9], s[8:9], 0x0
	s_add_i32 s4, s4, 64
	s_add_i32 s3, s3, -16
	s_waitcnt lgkmcnt(0)
	s_add_i32 s16, s10, s5
	s_add_i32 s20, s11, s19
	;; [unrolled: 1-line block ×4, first 2 shown]
	s_cmp_lg_u32 s3, 0
	s_cbranch_scc1 .LBB1_1
; %bb.2:
	s_mov_b32 s7, 0
	s_add_i32 s16, s16, s18
	s_add_i32 s18, s20, s22
	s_mov_b32 s4, 4
	s_movk_i32 s3, 0x80
	s_mov_b32 s6, s7
	s_mov_b32 s20, s7
	;; [unrolled: 1-line block ×3, first 2 shown]
.LBB1_3:                                ; =>This Inner Loop Header: Depth=1
	s_lshl_b64 s[10:11], s[6:7], 3
	s_mov_b32 s5, s7
	s_getpc_b64 s[8:9]
	s_add_u32 s8, s8, constant_data@rel32@lo+12
	s_addc_u32 s9, s9, constant_data@rel32@hi+20
	s_lshl_b64 s[42:43], s[4:5], 3
	s_add_u32 s10, s8, s10
	s_addc_u32 s11, s9, s11
	s_add_u32 s42, s8, s42
	s_addc_u32 s43, s9, s43
	s_load_dwordx2 s[10:11], s[10:11], 0x0
	s_mov_b32 s13, s7
	s_load_dwordx2 s[42:43], s[42:43], 0x0
	s_mov_b32 s15, s7
	s_add_i32 s14, s4, 8
	s_add_i32 s12, s6, 8
	s_lshl_b64 s[12:13], s[12:13], 3
	s_lshl_b64 s[14:15], s[14:15], 3
	s_waitcnt lgkmcnt(0)
	s_add_i32 s5, s10, s16
	s_add_i32 s24, s11, s18
	s_add_i32 s20, s42, s20
	s_add_i32 s22, s43, s22
	s_add_u32 s10, s8, s12
	s_addc_u32 s11, s9, s13
	s_add_u32 s12, s8, s14
	s_addc_u32 s13, s9, s15
	s_load_dwordx2 s[10:11], s[10:11], 0x0
	s_mov_b32 s17, s7
	s_load_dwordx2 s[12:13], s[12:13], 0x0
	s_mov_b32 s19, s7
	s_add_i32 s18, s4, 16
	s_add_i32 s16, s6, 16
	s_lshl_b64 s[14:15], s[16:17], 3
	s_lshl_b64 s[16:17], s[18:19], 3
	s_waitcnt lgkmcnt(0)
	s_add_i32 s5, s10, s5
	s_add_i32 s18, s11, s24
	s_add_i32 s19, s12, s20
	s_add_i32 s24, s13, s22
	;; [unrolled: 17-line block ×7, first 2 shown]
	s_add_u32 s10, s8, s14
	s_addc_u32 s11, s9, s15
	s_add_u32 s8, s8, s16
	s_addc_u32 s9, s9, s17
	s_load_dwordx2 s[10:11], s[10:11], 0x0
	s_add_i32 s6, s6, 64
	s_load_dwordx2 s[8:9], s[8:9], 0x0
	s_add_i32 s4, s4, 64
	s_add_i32 s3, s3, -16
	s_waitcnt lgkmcnt(0)
	s_add_i32 s16, s10, s5
	s_add_i32 s18, s11, s18
	;; [unrolled: 1-line block ×4, first 2 shown]
	s_cmp_lg_u32 s3, 0
	s_cbranch_scc1 .LBB1_3
; %bb.4:
	s_mov_b32 s7, 0
	s_add_i32 s16, s16, s20
	s_add_i32 s18, s18, s22
	s_mov_b32 s4, 4
	s_movk_i32 s3, 0x80
	s_mov_b32 s6, s7
	s_mov_b32 s20, s7
	;; [unrolled: 1-line block ×3, first 2 shown]
.LBB1_5:                                ; =>This Inner Loop Header: Depth=1
	s_lshl_b64 s[10:11], s[6:7], 3
	s_mov_b32 s5, s7
	s_getpc_b64 s[8:9]
	s_add_u32 s8, s8, constant_data@rel32@lo+20
	s_addc_u32 s9, s9, constant_data@rel32@hi+28
	s_lshl_b64 s[42:43], s[4:5], 3
	s_add_u32 s10, s8, s10
	s_addc_u32 s11, s9, s11
	s_add_u32 s42, s8, s42
	s_addc_u32 s43, s9, s43
	s_load_dwordx2 s[10:11], s[10:11], 0x0
	s_mov_b32 s13, s7
	s_load_dwordx2 s[42:43], s[42:43], 0x0
	s_mov_b32 s15, s7
	s_add_i32 s14, s4, 8
	s_add_i32 s12, s6, 8
	s_lshl_b64 s[12:13], s[12:13], 3
	s_lshl_b64 s[14:15], s[14:15], 3
	s_waitcnt lgkmcnt(0)
	s_add_i32 s5, s10, s16
	s_add_i32 s24, s11, s18
	s_add_i32 s20, s42, s20
	s_add_i32 s22, s43, s22
	s_add_u32 s10, s8, s12
	s_addc_u32 s11, s9, s13
	s_add_u32 s12, s8, s14
	s_addc_u32 s13, s9, s15
	s_load_dwordx2 s[10:11], s[10:11], 0x0
	s_mov_b32 s17, s7
	s_load_dwordx2 s[12:13], s[12:13], 0x0
	s_mov_b32 s19, s7
	s_add_i32 s18, s4, 16
	s_add_i32 s16, s6, 16
	s_lshl_b64 s[14:15], s[16:17], 3
	s_lshl_b64 s[16:17], s[18:19], 3
	s_waitcnt lgkmcnt(0)
	s_add_i32 s5, s10, s5
	s_add_i32 s18, s11, s24
	s_add_i32 s19, s12, s20
	s_add_i32 s24, s13, s22
	;; [unrolled: 17-line block ×7, first 2 shown]
	s_add_u32 s10, s8, s14
	s_addc_u32 s11, s9, s15
	s_add_u32 s8, s8, s16
	s_addc_u32 s9, s9, s17
	s_load_dwordx2 s[10:11], s[10:11], 0x0
	s_add_i32 s6, s6, 64
	s_load_dwordx2 s[8:9], s[8:9], 0x0
	s_add_i32 s4, s4, 64
	s_add_i32 s3, s3, -16
	s_waitcnt lgkmcnt(0)
	s_add_i32 s16, s10, s5
	s_add_i32 s18, s11, s18
	;; [unrolled: 1-line block ×4, first 2 shown]
	s_cmp_lg_u32 s3, 0
	s_cbranch_scc1 .LBB1_5
; %bb.6:
	s_mov_b32 s7, 0
	s_add_i32 s16, s16, s20
	s_add_i32 s18, s18, s22
	s_mov_b32 s4, 4
	s_movk_i32 s3, 0x80
	s_mov_b32 s6, s7
	s_mov_b32 s20, s7
	;; [unrolled: 1-line block ×3, first 2 shown]
.LBB1_7:                                ; =>This Inner Loop Header: Depth=1
	s_lshl_b64 s[10:11], s[6:7], 3
	s_mov_b32 s5, s7
	s_getpc_b64 s[8:9]
	s_add_u32 s8, s8, constant_data@rel32@lo+28
	s_addc_u32 s9, s9, constant_data@rel32@hi+36
	s_lshl_b64 s[42:43], s[4:5], 3
	s_add_u32 s10, s8, s10
	s_addc_u32 s11, s9, s11
	s_add_u32 s42, s8, s42
	s_addc_u32 s43, s9, s43
	s_load_dwordx2 s[10:11], s[10:11], 0x0
	s_mov_b32 s13, s7
	s_load_dwordx2 s[42:43], s[42:43], 0x0
	s_mov_b32 s15, s7
	s_add_i32 s14, s4, 8
	s_add_i32 s12, s6, 8
	s_lshl_b64 s[12:13], s[12:13], 3
	s_lshl_b64 s[14:15], s[14:15], 3
	s_waitcnt lgkmcnt(0)
	s_add_i32 s5, s10, s16
	s_add_i32 s24, s11, s18
	s_add_i32 s20, s42, s20
	s_add_i32 s22, s43, s22
	s_add_u32 s10, s8, s12
	s_addc_u32 s11, s9, s13
	s_add_u32 s12, s8, s14
	s_addc_u32 s13, s9, s15
	s_load_dwordx2 s[10:11], s[10:11], 0x0
	s_mov_b32 s17, s7
	s_load_dwordx2 s[12:13], s[12:13], 0x0
	s_mov_b32 s19, s7
	s_add_i32 s18, s4, 16
	s_add_i32 s16, s6, 16
	s_lshl_b64 s[14:15], s[16:17], 3
	s_lshl_b64 s[16:17], s[18:19], 3
	s_waitcnt lgkmcnt(0)
	s_add_i32 s5, s10, s5
	s_add_i32 s18, s11, s24
	s_add_i32 s19, s12, s20
	s_add_i32 s24, s13, s22
	;; [unrolled: 17-line block ×7, first 2 shown]
	s_add_u32 s10, s8, s14
	s_addc_u32 s11, s9, s15
	s_add_u32 s8, s8, s16
	s_addc_u32 s9, s9, s17
	s_load_dwordx2 s[10:11], s[10:11], 0x0
	s_add_i32 s6, s6, 64
	s_load_dwordx2 s[8:9], s[8:9], 0x0
	s_add_i32 s4, s4, 64
	s_add_i32 s3, s3, -16
	s_waitcnt lgkmcnt(0)
	s_add_i32 s16, s10, s5
	s_add_i32 s18, s11, s18
	;; [unrolled: 1-line block ×4, first 2 shown]
	s_cmp_lg_u32 s3, 0
	s_cbranch_scc1 .LBB1_7
; %bb.8:
	v_or_b32_e32 v0, s2, v0
	v_cmp_eq_u32_e32 vcc, 0, v0
	s_and_saveexec_b64 s[2:3], vcc
	s_cbranch_execz .LBB1_10
; %bb.9:
	s_load_dwordx2 s[0:1], s[0:1], 0x0
	s_add_i32 s2, s20, s22
	s_add_i32 s3, s16, s18
	;; [unrolled: 1-line block ×3, first 2 shown]
	v_mov_b32_e32 v0, 0
	v_mov_b32_e32 v1, s2
	s_waitcnt lgkmcnt(0)
	global_store_dword v0, v1, s[0:1]
.LBB1_10:
	s_endpgm
	.section	.rodata,"a",@progbits
	.p2align	6, 0x0
	.amdhsa_kernel _Z18benchmark_constantI15HIP_vector_typeIiLj2EEEvPii
		.amdhsa_group_segment_fixed_size 0
		.amdhsa_private_segment_fixed_size 0
		.amdhsa_kernarg_size 12
		.amdhsa_user_sgpr_count 2
		.amdhsa_user_sgpr_dispatch_ptr 0
		.amdhsa_user_sgpr_queue_ptr 0
		.amdhsa_user_sgpr_kernarg_segment_ptr 1
		.amdhsa_user_sgpr_dispatch_id 0
		.amdhsa_user_sgpr_kernarg_preload_length 0
		.amdhsa_user_sgpr_kernarg_preload_offset 0
		.amdhsa_user_sgpr_private_segment_size 0
		.amdhsa_uses_dynamic_stack 0
		.amdhsa_enable_private_segment 0
		.amdhsa_system_sgpr_workgroup_id_x 1
		.amdhsa_system_sgpr_workgroup_id_y 0
		.amdhsa_system_sgpr_workgroup_id_z 0
		.amdhsa_system_sgpr_workgroup_info 0
		.amdhsa_system_vgpr_workitem_id 0
		.amdhsa_next_free_vgpr 2
		.amdhsa_next_free_sgpr 44
		.amdhsa_accum_offset 4
		.amdhsa_reserve_vcc 1
		.amdhsa_float_round_mode_32 0
		.amdhsa_float_round_mode_16_64 0
		.amdhsa_float_denorm_mode_32 3
		.amdhsa_float_denorm_mode_16_64 3
		.amdhsa_dx10_clamp 1
		.amdhsa_ieee_mode 1
		.amdhsa_fp16_overflow 0
		.amdhsa_tg_split 0
		.amdhsa_exception_fp_ieee_invalid_op 0
		.amdhsa_exception_fp_denorm_src 0
		.amdhsa_exception_fp_ieee_div_zero 0
		.amdhsa_exception_fp_ieee_overflow 0
		.amdhsa_exception_fp_ieee_underflow 0
		.amdhsa_exception_fp_ieee_inexact 0
		.amdhsa_exception_int_div_zero 0
	.end_amdhsa_kernel
	.section	.text._Z18benchmark_constantI15HIP_vector_typeIiLj2EEEvPii,"axG",@progbits,_Z18benchmark_constantI15HIP_vector_typeIiLj2EEEvPii,comdat
.Lfunc_end1:
	.size	_Z18benchmark_constantI15HIP_vector_typeIiLj2EEEvPii, .Lfunc_end1-_Z18benchmark_constantI15HIP_vector_typeIiLj2EEEvPii
                                        ; -- End function
	.set _Z18benchmark_constantI15HIP_vector_typeIiLj2EEEvPii.num_vgpr, 2
	.set _Z18benchmark_constantI15HIP_vector_typeIiLj2EEEvPii.num_agpr, 0
	.set _Z18benchmark_constantI15HIP_vector_typeIiLj2EEEvPii.numbered_sgpr, 44
	.set _Z18benchmark_constantI15HIP_vector_typeIiLj2EEEvPii.num_named_barrier, 0
	.set _Z18benchmark_constantI15HIP_vector_typeIiLj2EEEvPii.private_seg_size, 0
	.set _Z18benchmark_constantI15HIP_vector_typeIiLj2EEEvPii.uses_vcc, 1
	.set _Z18benchmark_constantI15HIP_vector_typeIiLj2EEEvPii.uses_flat_scratch, 0
	.set _Z18benchmark_constantI15HIP_vector_typeIiLj2EEEvPii.has_dyn_sized_stack, 0
	.set _Z18benchmark_constantI15HIP_vector_typeIiLj2EEEvPii.has_recursion, 0
	.set _Z18benchmark_constantI15HIP_vector_typeIiLj2EEEvPii.has_indirect_call, 0
	.section	.AMDGPU.csdata,"",@progbits
; Kernel info:
; codeLenInByte = 2732
; TotalNumSgprs: 50
; NumVgprs: 2
; NumAgprs: 0
; TotalNumVgprs: 2
; ScratchSize: 0
; MemoryBound: 0
; FloatMode: 240
; IeeeMode: 1
; LDSByteSize: 0 bytes/workgroup (compile time only)
; SGPRBlocks: 6
; VGPRBlocks: 0
; NumSGPRsForWavesPerEU: 50
; NumVGPRsForWavesPerEU: 2
; AccumOffset: 4
; Occupancy: 8
; WaveLimiterHint : 0
; COMPUTE_PGM_RSRC2:SCRATCH_EN: 0
; COMPUTE_PGM_RSRC2:USER_SGPR: 2
; COMPUTE_PGM_RSRC2:TRAP_HANDLER: 0
; COMPUTE_PGM_RSRC2:TGID_X_EN: 1
; COMPUTE_PGM_RSRC2:TGID_Y_EN: 0
; COMPUTE_PGM_RSRC2:TGID_Z_EN: 0
; COMPUTE_PGM_RSRC2:TIDIG_COMP_CNT: 0
; COMPUTE_PGM_RSRC3_GFX90A:ACCUM_OFFSET: 0
; COMPUTE_PGM_RSRC3_GFX90A:TG_SPLIT: 0
	.section	.text._Z18benchmark_constantI15HIP_vector_typeIiLj4EEEvPii,"axG",@progbits,_Z18benchmark_constantI15HIP_vector_typeIiLj4EEEvPii,comdat
	.protected	_Z18benchmark_constantI15HIP_vector_typeIiLj4EEEvPii ; -- Begin function _Z18benchmark_constantI15HIP_vector_typeIiLj4EEEvPii
	.globl	_Z18benchmark_constantI15HIP_vector_typeIiLj4EEEvPii
	.p2align	8
	.type	_Z18benchmark_constantI15HIP_vector_typeIiLj4EEEvPii,@function
_Z18benchmark_constantI15HIP_vector_typeIiLj4EEEvPii: ; @_Z18benchmark_constantI15HIP_vector_typeIiLj4EEEvPii
; %bb.0:
	s_mov_b32 s7, 0
	s_mov_b32 s4, 4
	;; [unrolled: 1-line block ×12, first 2 shown]
.LBB2_1:                                ; =>This Inner Loop Header: Depth=1
	s_lshl_b64 s[18:19], s[6:7], 4
	s_getpc_b64 s[8:9]
	s_add_u32 s8, s8, constant_data@rel32@lo+4
	s_addc_u32 s9, s9, constant_data@rel32@hi+12
	s_mov_b32 s5, s7
	s_add_u32 s18, s8, s18
	s_addc_u32 s19, s9, s19
	s_lshl_b64 s[24:25], s[4:5], 4
	s_add_u32 s24, s8, s24
	s_addc_u32 s25, s9, s25
	s_load_dwordx4 s[20:23], s[18:19], 0x0
	s_mov_b32 s29, s7
	s_load_dwordx4 s[24:27], s[24:25], 0x0
	s_add_i32 s28, s6, 8
	s_add_i32 s30, s4, 8
	s_lshl_b64 s[18:19], s[28:29], 4
	s_waitcnt lgkmcnt(0)
	s_add_i32 s5, s20, s10
	s_add_i32 s20, s21, s12
	s_add_i32 s21, s22, s14
	s_add_i32 s22, s23, s16
	s_add_i32 s23, s24, s11
	s_add_i32 s24, s25, s13
	s_add_i32 s25, s26, s15
	s_add_i32 s26, s27, s17
	s_mov_b32 s31, s7
	s_add_u32 s10, s8, s18
	s_addc_u32 s11, s9, s19
	s_lshl_b64 s[16:17], s[30:31], 4
	s_add_u32 s16, s8, s16
	s_addc_u32 s17, s9, s17
	s_load_dwordx4 s[12:15], s[10:11], 0x0
	s_mov_b32 s35, s7
	s_load_dwordx4 s[16:19], s[16:17], 0x0
	s_add_i32 s34, s6, 16
	s_add_i32 s36, s4, 16
	s_lshl_b64 s[10:11], s[34:35], 4
	s_waitcnt lgkmcnt(0)
	s_add_i32 s5, s12, s5
	s_add_i32 s20, s13, s20
	s_add_i32 s21, s14, s21
	s_add_i32 s22, s15, s22
	s_add_i32 s23, s16, s23
	s_add_i32 s24, s17, s24
	s_add_i32 s25, s18, s25
	s_add_i32 s26, s19, s26
	;; [unrolled: 21-line block ×3, first 2 shown]
	s_mov_b32 s41, s7
	s_add_u32 s10, s8, s10
	s_addc_u32 s11, s9, s11
	s_lshl_b64 s[16:17], s[40:41], 4
	s_add_u32 s8, s8, s16
	s_addc_u32 s9, s9, s17
	s_load_dwordx4 s[12:15], s[10:11], 0x0
	s_load_dwordx4 s[20:23], s[8:9], 0x0
	s_add_i32 s6, s6, 32
	s_add_i32 s4, s4, 32
	s_add_i32 s3, s3, -8
	s_waitcnt lgkmcnt(0)
	s_add_i32 s10, s12, s5
	s_add_i32 s12, s13, s27
	;; [unrolled: 1-line block ×8, first 2 shown]
	s_cmp_lg_u32 s3, 0
	s_cbranch_scc1 .LBB2_1
; %bb.2:
	s_mov_b32 s7, 0
	s_add_i32 s10, s10, s11
	s_add_i32 s11, s12, s13
	;; [unrolled: 1-line block ×4, first 2 shown]
	s_mov_b32 s4, 4
	s_mov_b32 s3, 64
	s_mov_b32 s6, s7
	s_mov_b32 s14, s7
	s_mov_b32 s15, s7
	s_mov_b32 s16, s7
	s_mov_b32 s17, s7
.LBB2_3:                                ; =>This Inner Loop Header: Depth=1
	s_lshl_b64 s[18:19], s[6:7], 4
	s_mov_b32 s5, s7
	s_getpc_b64 s[8:9]
	s_add_u32 s8, s8, constant_data@rel32@lo+20
	s_addc_u32 s9, s9, constant_data@rel32@hi+28
	s_lshl_b64 s[24:25], s[4:5], 4
	s_add_u32 s18, s8, s18
	s_addc_u32 s19, s9, s19
	s_add_u32 s24, s8, s24
	s_addc_u32 s25, s9, s25
	s_load_dwordx4 s[20:23], s[18:19], 0x0
	s_mov_b32 s29, s7
	s_load_dwordx4 s[24:27], s[24:25], 0x0
	s_mov_b32 s31, s7
	s_add_i32 s30, s4, 8
	s_add_i32 s28, s6, 8
	s_lshl_b64 s[18:19], s[28:29], 4
	s_lshl_b64 s[28:29], s[30:31], 4
	s_waitcnt lgkmcnt(0)
	s_add_i32 s5, s20, s10
	s_add_i32 s30, s21, s11
	s_add_i32 s22, s22, s12
	s_add_i32 s23, s23, s13
	s_add_i32 s24, s24, s14
	s_add_i32 s25, s25, s15
	s_add_i32 s26, s26, s16
	s_add_i32 s27, s27, s17
	s_add_u32 s10, s8, s18
	s_addc_u32 s11, s9, s19
	s_add_u32 s16, s8, s28
	s_addc_u32 s17, s9, s29
	s_load_dwordx4 s[12:15], s[10:11], 0x0
	s_mov_b32 s35, s7
	s_load_dwordx4 s[16:19], s[16:17], 0x0
	s_mov_b32 s37, s7
	s_add_i32 s36, s4, 16
	s_add_i32 s34, s6, 16
	s_lshl_b64 s[10:11], s[34:35], 4
	s_lshl_b64 s[20:21], s[36:37], 4
	s_waitcnt lgkmcnt(0)
	s_add_i32 s5, s12, s5
	s_add_i32 s28, s13, s30
	s_add_i32 s22, s14, s22
	s_add_i32 s23, s15, s23
	s_add_i32 s24, s16, s24
	s_add_i32 s25, s17, s25
	s_add_i32 s26, s18, s26
	s_add_i32 s27, s19, s27
	;; [unrolled: 21-line block ×3, first 2 shown]
	s_add_u32 s10, s8, s10
	s_addc_u32 s11, s9, s11
	s_add_u32 s8, s8, s20
	s_addc_u32 s9, s9, s21
	s_load_dwordx4 s[12:15], s[10:11], 0x0
	s_load_dwordx4 s[16:19], s[8:9], 0x0
	s_add_i32 s6, s6, 32
	s_add_i32 s4, s4, 32
	s_add_i32 s3, s3, -8
	s_waitcnt lgkmcnt(0)
	s_add_i32 s10, s12, s5
	s_add_i32 s11, s13, s28
	;; [unrolled: 1-line block ×8, first 2 shown]
	s_cmp_lg_u32 s3, 0
	s_cbranch_scc1 .LBB2_3
; %bb.4:
	s_mov_b32 s7, 0
	s_add_i32 s10, s10, s14
	s_add_i32 s11, s11, s15
	;; [unrolled: 1-line block ×4, first 2 shown]
	s_mov_b32 s4, 4
	s_mov_b32 s3, 64
	s_mov_b32 s6, s7
	s_mov_b32 s14, s7
	s_mov_b32 s15, s7
	s_mov_b32 s16, s7
	s_mov_b32 s17, s7
.LBB2_5:                                ; =>This Inner Loop Header: Depth=1
	s_lshl_b64 s[18:19], s[6:7], 4
	s_mov_b32 s5, s7
	s_getpc_b64 s[8:9]
	s_add_u32 s8, s8, constant_data@rel32@lo+36
	s_addc_u32 s9, s9, constant_data@rel32@hi+44
	s_lshl_b64 s[24:25], s[4:5], 4
	s_add_u32 s18, s8, s18
	s_addc_u32 s19, s9, s19
	s_add_u32 s24, s8, s24
	s_addc_u32 s25, s9, s25
	s_load_dwordx4 s[20:23], s[18:19], 0x0
	s_mov_b32 s29, s7
	s_load_dwordx4 s[24:27], s[24:25], 0x0
	s_mov_b32 s31, s7
	s_add_i32 s30, s4, 8
	s_add_i32 s28, s6, 8
	s_lshl_b64 s[18:19], s[28:29], 4
	s_lshl_b64 s[28:29], s[30:31], 4
	s_waitcnt lgkmcnt(0)
	s_add_i32 s5, s20, s10
	s_add_i32 s30, s21, s11
	s_add_i32 s22, s22, s12
	s_add_i32 s23, s23, s13
	s_add_i32 s24, s24, s14
	s_add_i32 s25, s25, s15
	s_add_i32 s26, s26, s16
	s_add_i32 s27, s27, s17
	s_add_u32 s10, s8, s18
	s_addc_u32 s11, s9, s19
	s_add_u32 s16, s8, s28
	s_addc_u32 s17, s9, s29
	s_load_dwordx4 s[12:15], s[10:11], 0x0
	s_mov_b32 s35, s7
	s_load_dwordx4 s[16:19], s[16:17], 0x0
	s_mov_b32 s37, s7
	s_add_i32 s36, s4, 16
	s_add_i32 s34, s6, 16
	s_lshl_b64 s[10:11], s[34:35], 4
	s_lshl_b64 s[20:21], s[36:37], 4
	s_waitcnt lgkmcnt(0)
	s_add_i32 s5, s12, s5
	s_add_i32 s28, s13, s30
	s_add_i32 s22, s14, s22
	s_add_i32 s23, s15, s23
	s_add_i32 s24, s16, s24
	s_add_i32 s25, s17, s25
	s_add_i32 s26, s18, s26
	s_add_i32 s27, s19, s27
	;; [unrolled: 21-line block ×3, first 2 shown]
	s_add_u32 s10, s8, s10
	s_addc_u32 s11, s9, s11
	s_add_u32 s8, s8, s20
	s_addc_u32 s9, s9, s21
	s_load_dwordx4 s[12:15], s[10:11], 0x0
	s_load_dwordx4 s[16:19], s[8:9], 0x0
	s_add_i32 s6, s6, 32
	s_add_i32 s4, s4, 32
	s_add_i32 s3, s3, -8
	s_waitcnt lgkmcnt(0)
	s_add_i32 s10, s12, s5
	s_add_i32 s11, s13, s28
	;; [unrolled: 1-line block ×8, first 2 shown]
	s_cmp_lg_u32 s3, 0
	s_cbranch_scc1 .LBB2_5
; %bb.6:
	s_mov_b32 s7, 0
	s_add_i32 s10, s10, s14
	s_add_i32 s11, s11, s15
	;; [unrolled: 1-line block ×4, first 2 shown]
	s_mov_b32 s4, 4
	s_mov_b32 s3, 64
	;; [unrolled: 1-line block ×7, first 2 shown]
.LBB2_7:                                ; =>This Inner Loop Header: Depth=1
	s_lshl_b64 s[18:19], s[6:7], 4
	s_mov_b32 s5, s7
	s_getpc_b64 s[8:9]
	s_add_u32 s8, s8, constant_data@rel32@lo+52
	s_addc_u32 s9, s9, constant_data@rel32@hi+60
	s_lshl_b64 s[24:25], s[4:5], 4
	s_add_u32 s18, s8, s18
	s_addc_u32 s19, s9, s19
	s_add_u32 s24, s8, s24
	s_addc_u32 s25, s9, s25
	s_load_dwordx4 s[20:23], s[18:19], 0x0
	s_mov_b32 s29, s7
	s_load_dwordx4 s[24:27], s[24:25], 0x0
	s_mov_b32 s31, s7
	s_add_i32 s30, s4, 8
	s_add_i32 s28, s6, 8
	s_lshl_b64 s[18:19], s[28:29], 4
	s_lshl_b64 s[28:29], s[30:31], 4
	s_waitcnt lgkmcnt(0)
	s_add_i32 s5, s20, s10
	s_add_i32 s30, s21, s11
	s_add_i32 s22, s22, s12
	s_add_i32 s23, s23, s13
	s_add_i32 s24, s24, s14
	s_add_i32 s25, s25, s15
	s_add_i32 s26, s26, s16
	s_add_i32 s27, s27, s17
	s_add_u32 s10, s8, s18
	s_addc_u32 s11, s9, s19
	s_add_u32 s16, s8, s28
	s_addc_u32 s17, s9, s29
	s_load_dwordx4 s[12:15], s[10:11], 0x0
	s_mov_b32 s35, s7
	s_load_dwordx4 s[16:19], s[16:17], 0x0
	s_mov_b32 s37, s7
	s_add_i32 s36, s4, 16
	s_add_i32 s34, s6, 16
	s_lshl_b64 s[10:11], s[34:35], 4
	s_lshl_b64 s[20:21], s[36:37], 4
	s_waitcnt lgkmcnt(0)
	s_add_i32 s5, s12, s5
	s_add_i32 s28, s13, s30
	s_add_i32 s22, s14, s22
	s_add_i32 s23, s15, s23
	s_add_i32 s24, s16, s24
	s_add_i32 s25, s17, s25
	s_add_i32 s26, s18, s26
	s_add_i32 s27, s19, s27
	;; [unrolled: 21-line block ×3, first 2 shown]
	s_add_u32 s10, s8, s10
	s_addc_u32 s11, s9, s11
	s_add_u32 s8, s8, s20
	s_addc_u32 s9, s9, s21
	s_load_dwordx4 s[12:15], s[10:11], 0x0
	s_load_dwordx4 s[16:19], s[8:9], 0x0
	s_add_i32 s6, s6, 32
	s_add_i32 s4, s4, 32
	s_add_i32 s3, s3, -8
	s_waitcnt lgkmcnt(0)
	s_add_i32 s10, s12, s5
	s_add_i32 s11, s13, s28
	;; [unrolled: 1-line block ×8, first 2 shown]
	s_cmp_lg_u32 s3, 0
	s_cbranch_scc1 .LBB2_7
; %bb.8:
	v_or_b32_e32 v0, s2, v0
	v_cmp_eq_u32_e32 vcc, 0, v0
	s_and_saveexec_b64 s[2:3], vcc
	s_cbranch_execz .LBB2_10
; %bb.9:
	s_load_dwordx2 s[0:1], s[0:1], 0x0
	s_add_i32 s2, s16, s17
	s_add_i32 s3, s12, s13
	s_add_i32 s3, s3, s11
	s_add_i32 s2, s2, s15
	s_add_i32 s2, s2, s14
	s_add_i32 s3, s3, s10
	s_add_i32 s2, s3, s2
	v_mov_b32_e32 v0, 0
	v_mov_b32_e32 v1, s2
	s_waitcnt lgkmcnt(0)
	global_store_dword v0, v1, s[0:1]
.LBB2_10:
	s_endpgm
	.section	.rodata,"a",@progbits
	.p2align	6, 0x0
	.amdhsa_kernel _Z18benchmark_constantI15HIP_vector_typeIiLj4EEEvPii
		.amdhsa_group_segment_fixed_size 0
		.amdhsa_private_segment_fixed_size 0
		.amdhsa_kernarg_size 12
		.amdhsa_user_sgpr_count 2
		.amdhsa_user_sgpr_dispatch_ptr 0
		.amdhsa_user_sgpr_queue_ptr 0
		.amdhsa_user_sgpr_kernarg_segment_ptr 1
		.amdhsa_user_sgpr_dispatch_id 0
		.amdhsa_user_sgpr_kernarg_preload_length 0
		.amdhsa_user_sgpr_kernarg_preload_offset 0
		.amdhsa_user_sgpr_private_segment_size 0
		.amdhsa_uses_dynamic_stack 0
		.amdhsa_enable_private_segment 0
		.amdhsa_system_sgpr_workgroup_id_x 1
		.amdhsa_system_sgpr_workgroup_id_y 0
		.amdhsa_system_sgpr_workgroup_id_z 0
		.amdhsa_system_sgpr_workgroup_info 0
		.amdhsa_system_vgpr_workitem_id 0
		.amdhsa_next_free_vgpr 2
		.amdhsa_next_free_sgpr 42
		.amdhsa_accum_offset 4
		.amdhsa_reserve_vcc 1
		.amdhsa_float_round_mode_32 0
		.amdhsa_float_round_mode_16_64 0
		.amdhsa_float_denorm_mode_32 3
		.amdhsa_float_denorm_mode_16_64 3
		.amdhsa_dx10_clamp 1
		.amdhsa_ieee_mode 1
		.amdhsa_fp16_overflow 0
		.amdhsa_tg_split 0
		.amdhsa_exception_fp_ieee_invalid_op 0
		.amdhsa_exception_fp_denorm_src 0
		.amdhsa_exception_fp_ieee_div_zero 0
		.amdhsa_exception_fp_ieee_overflow 0
		.amdhsa_exception_fp_ieee_underflow 0
		.amdhsa_exception_fp_ieee_inexact 0
		.amdhsa_exception_int_div_zero 0
	.end_amdhsa_kernel
	.section	.text._Z18benchmark_constantI15HIP_vector_typeIiLj4EEEvPii,"axG",@progbits,_Z18benchmark_constantI15HIP_vector_typeIiLj4EEEvPii,comdat
.Lfunc_end2:
	.size	_Z18benchmark_constantI15HIP_vector_typeIiLj4EEEvPii, .Lfunc_end2-_Z18benchmark_constantI15HIP_vector_typeIiLj4EEEvPii
                                        ; -- End function
	.set _Z18benchmark_constantI15HIP_vector_typeIiLj4EEEvPii.num_vgpr, 2
	.set _Z18benchmark_constantI15HIP_vector_typeIiLj4EEEvPii.num_agpr, 0
	.set _Z18benchmark_constantI15HIP_vector_typeIiLj4EEEvPii.numbered_sgpr, 42
	.set _Z18benchmark_constantI15HIP_vector_typeIiLj4EEEvPii.num_named_barrier, 0
	.set _Z18benchmark_constantI15HIP_vector_typeIiLj4EEEvPii.private_seg_size, 0
	.set _Z18benchmark_constantI15HIP_vector_typeIiLj4EEEvPii.uses_vcc, 1
	.set _Z18benchmark_constantI15HIP_vector_typeIiLj4EEEvPii.uses_flat_scratch, 0
	.set _Z18benchmark_constantI15HIP_vector_typeIiLj4EEEvPii.has_dyn_sized_stack, 0
	.set _Z18benchmark_constantI15HIP_vector_typeIiLj4EEEvPii.has_recursion, 0
	.set _Z18benchmark_constantI15HIP_vector_typeIiLj4EEEvPii.has_indirect_call, 0
	.section	.AMDGPU.csdata,"",@progbits
; Kernel info:
; codeLenInByte = 1852
; TotalNumSgprs: 48
; NumVgprs: 2
; NumAgprs: 0
; TotalNumVgprs: 2
; ScratchSize: 0
; MemoryBound: 0
; FloatMode: 240
; IeeeMode: 1
; LDSByteSize: 0 bytes/workgroup (compile time only)
; SGPRBlocks: 5
; VGPRBlocks: 0
; NumSGPRsForWavesPerEU: 48
; NumVGPRsForWavesPerEU: 2
; AccumOffset: 4
; Occupancy: 8
; WaveLimiterHint : 0
; COMPUTE_PGM_RSRC2:SCRATCH_EN: 0
; COMPUTE_PGM_RSRC2:USER_SGPR: 2
; COMPUTE_PGM_RSRC2:TRAP_HANDLER: 0
; COMPUTE_PGM_RSRC2:TGID_X_EN: 1
; COMPUTE_PGM_RSRC2:TGID_Y_EN: 0
; COMPUTE_PGM_RSRC2:TGID_Z_EN: 0
; COMPUTE_PGM_RSRC2:TIDIG_COMP_CNT: 0
; COMPUTE_PGM_RSRC3_GFX90A:ACCUM_OFFSET: 0
; COMPUTE_PGM_RSRC3_GFX90A:TG_SPLIT: 0
	.section	.AMDGPU.gpr_maximums,"",@progbits
	.set amdgpu.max_num_vgpr, 0
	.set amdgpu.max_num_agpr, 0
	.set amdgpu.max_num_sgpr, 0
	.section	.AMDGPU.csdata,"",@progbits
	.protected	constant_data           ; @constant_data
	.type	constant_data,@object
	.section	.rodata,"a",@progbits
	.globl	constant_data
	.p2align	4, 0x0
constant_data:
	.zero	4096
	.size	constant_data, 4096

	.type	__hip_cuid_963283353556777c,@object ; @__hip_cuid_963283353556777c
	.section	.bss,"aw",@nobits
	.globl	__hip_cuid_963283353556777c
__hip_cuid_963283353556777c:
	.byte	0                               ; 0x0
	.size	__hip_cuid_963283353556777c, 1

	.ident	"AMD clang version 22.0.0git (https://github.com/RadeonOpenCompute/llvm-project roc-7.2.4 26084 f58b06dce1f9c15707c5f808fd002e18c2accf7e)"
	.section	".note.GNU-stack","",@progbits
	.addrsig
	.addrsig_sym constant_data
	.addrsig_sym __hip_cuid_963283353556777c
	.amdgpu_metadata
---
amdhsa.kernels:
  - .agpr_count:     0
    .args:
      - .address_space:  global
        .offset:         0
        .size:           8
        .value_kind:     global_buffer
      - .offset:         8
        .size:           4
        .value_kind:     by_value
    .group_segment_fixed_size: 0
    .kernarg_segment_align: 8
    .kernarg_segment_size: 12
    .language:       OpenCL C
    .language_version:
      - 2
      - 0
    .max_flat_workgroup_size: 1024
    .name:           _Z18benchmark_constantIiEvPii
    .private_segment_fixed_size: 0
    .sgpr_count:     50
    .sgpr_spill_count: 0
    .symbol:         _Z18benchmark_constantIiEvPii.kd
    .uniform_work_group_size: 1
    .uses_dynamic_stack: false
    .vgpr_count:     2
    .vgpr_spill_count: 0
    .wavefront_size: 64
  - .agpr_count:     0
    .args:
      - .address_space:  global
        .offset:         0
        .size:           8
        .value_kind:     global_buffer
      - .offset:         8
        .size:           4
        .value_kind:     by_value
    .group_segment_fixed_size: 0
    .kernarg_segment_align: 8
    .kernarg_segment_size: 12
    .language:       OpenCL C
    .language_version:
      - 2
      - 0
    .max_flat_workgroup_size: 1024
    .name:           _Z18benchmark_constantI15HIP_vector_typeIiLj2EEEvPii
    .private_segment_fixed_size: 0
    .sgpr_count:     50
    .sgpr_spill_count: 0
    .symbol:         _Z18benchmark_constantI15HIP_vector_typeIiLj2EEEvPii.kd
    .uniform_work_group_size: 1
    .uses_dynamic_stack: false
    .vgpr_count:     2
    .vgpr_spill_count: 0
    .wavefront_size: 64
  - .agpr_count:     0
    .args:
      - .address_space:  global
        .offset:         0
        .size:           8
        .value_kind:     global_buffer
      - .offset:         8
        .size:           4
        .value_kind:     by_value
    .group_segment_fixed_size: 0
    .kernarg_segment_align: 8
    .kernarg_segment_size: 12
    .language:       OpenCL C
    .language_version:
      - 2
      - 0
    .max_flat_workgroup_size: 1024
    .name:           _Z18benchmark_constantI15HIP_vector_typeIiLj4EEEvPii
    .private_segment_fixed_size: 0
    .sgpr_count:     48
    .sgpr_spill_count: 0
    .symbol:         _Z18benchmark_constantI15HIP_vector_typeIiLj4EEEvPii.kd
    .uniform_work_group_size: 1
    .uses_dynamic_stack: false
    .vgpr_count:     2
    .vgpr_spill_count: 0
    .wavefront_size: 64
amdhsa.target:   amdgcn-amd-amdhsa--gfx950
amdhsa.version:
  - 1
  - 2
...

	.end_amdgpu_metadata
